;; amdgpu-corpus repo=zjin-lcf/HeCBench kind=compiled arch=gfx1250 opt=O3
	.amdgcn_target "amdgcn-amd-amdhsa--gfx1250"
	.amdhsa_code_object_version 6
	.text
	.protected	_Z7computePKjS0_PKmS2_S0_PjS3_ ; -- Begin function _Z7computePKjS0_PKmS2_S0_PjS3_
	.globl	_Z7computePKjS0_PKmS2_S0_PjS3_
	.p2align	8
	.type	_Z7computePKjS0_PKmS2_S0_PjS3_,@function
_Z7computePKjS0_PKmS2_S0_PjS3_:         ; @_Z7computePKjS0_PKmS2_S0_PjS3_
; %bb.0:
	s_clause 0x1
	s_load_b32 s2, s[0:1], 0x44
	s_load_b64 s[4:5], s[0:1], 0x0
	s_bfe_u32 s3, ttmp6, 0x4000c
	s_and_b32 s6, ttmp6, 15
	s_add_co_i32 s3, s3, 1
	s_getreg_b32 s7, hwreg(HW_REG_IB_STS2, 6, 4)
	s_mul_i32 s3, ttmp9, s3
	v_mov_b32_e32 v5, 0
	s_add_co_i32 s6, s6, s3
	s_cmp_eq_u32 s7, 0
	v_mov_b64_e32 v[2:3], 0
	s_cselect_b32 s10, ttmp9, s6
	s_wait_kmcnt 0x0
	s_and_b32 s2, s2, 0xffff
	s_delay_alu instid0(SALU_CYCLE_1) | instskip(NEXT) | instid1(SALU_CYCLE_1)
	s_mul_i32 s2, s10, s2
	v_add_lshl_u32 v4, s2, v0, 3
	s_clause 0x1
	s_load_b64 s[6:7], s[0:1], 0x10
	s_load_b64 s[2:3], s[0:1], 0x20
	global_load_b32 v1, v4, s[4:5] scale_offset
	v_lshl_add_u64 v[6:7], v[4:5], 2, s[4:5]
	s_wait_xcnt 0x0
	s_mov_b32 s4, exec_lo
	s_wait_loadcnt 0x0
	v_cmpx_ne_u32_e32 -1, v1
	s_cbranch_execz .LBB0_6
; %bb.1:
	v_dual_lshrrev_b32 v2, 16, v1 :: v_dual_lshrrev_b32 v3, 13, v1
	s_mov_b32 s5, exec_lo
	s_delay_alu instid0(VALU_DEP_1) | instskip(SKIP_4) | instid1(VALU_DEP_1)
	v_and_b32_e32 v2, 0xfffc, v2
	s_wait_kmcnt 0x0
	global_load_b32 v2, v2, s[2:3]
	s_wait_loadcnt 0x0
	v_lshrrev_b32_e32 v2, v3, v2
	v_and_b32_e32 v8, 1, v2
	v_mov_b64_e32 v[2:3], 0
	s_delay_alu instid0(VALU_DEP_2)
	v_cmpx_eq_u32_e32 1, v8
	s_cbranch_execz .LBB0_5
; %bb.2:
	v_dual_lshrrev_b32 v2, 11, v1 :: v_dual_lshrrev_b32 v3, 8, v1
	s_mov_b32 s8, exec_lo
	s_delay_alu instid0(VALU_DEP_1) | instskip(SKIP_3) | instid1(VALU_DEP_1)
	v_and_b32_e32 v2, 0xfffc, v2
	global_load_b32 v2, v2, s[2:3]
	s_wait_loadcnt 0x0
	v_lshrrev_b32_e32 v2, v3, v2
	v_and_b32_e32 v8, 1, v2
	v_mov_b64_e32 v[2:3], 0
	s_delay_alu instid0(VALU_DEP_2)
	v_cmpx_eq_u32_e32 1, v8
	s_cbranch_execz .LBB0_4
; %bb.3:
	v_lshrrev_b32_e32 v2, 5, v1
	v_and_b32_e32 v1, 0xff, v1
	s_delay_alu instid0(VALU_DEP_2) | instskip(SKIP_4) | instid1(VALU_DEP_2)
	v_and_b32_e32 v2, 0x7fffff8, v2
	global_load_b64 v[2:3], v2, s[6:7]
	s_wait_loadcnt 0x0
	v_alignbit_b32 v3, v3, v2, 24
	v_and_b32_e32 v2, 0xfffff, v2
	v_and_b32_e32 v8, 0xffff, v3
	v_mov_b32_e32 v3, 0
	s_delay_alu instid0(VALU_DEP_3) | instskip(NEXT) | instid1(VALU_DEP_3)
	v_mul_u32_u24_e32 v2, v2, v1
	v_mul_u32_u24_e32 v8, v8, v1
	s_delay_alu instid0(VALU_DEP_3) | instskip(NEXT) | instid1(VALU_DEP_1)
	v_mov_b32_e32 v9, v3
	v_lshlrev_b64_e32 v[8:9], 24, v[8:9]
	s_delay_alu instid0(VALU_DEP_1)
	v_add_nc_u64_e32 v[2:3], v[8:9], v[2:3]
.LBB0_4:
	s_or_b32 exec_lo, exec_lo, s8
.LBB0_5:
	s_delay_alu instid0(SALU_CYCLE_1)
	s_or_b32 exec_lo, exec_lo, s5
.LBB0_6:
	s_delay_alu instid0(SALU_CYCLE_1)
	s_or_b32 exec_lo, exec_lo, s4
	global_load_b32 v1, v[6:7], off offset:4
	s_mov_b32 s4, exec_lo
	s_wait_loadcnt 0x0
	v_cmpx_ne_u32_e32 -1, v1
	s_cbranch_execz .LBB0_12
; %bb.7:
	v_dual_lshrrev_b32 v8, 16, v1 :: v_dual_lshrrev_b32 v9, 13, v1
	s_mov_b32 s5, exec_lo
	s_delay_alu instid0(VALU_DEP_1) | instskip(SKIP_4) | instid1(VALU_DEP_1)
	v_and_b32_e32 v8, 0xfffc, v8
	s_wait_kmcnt 0x0
	global_load_b32 v8, v8, s[2:3]
	s_wait_loadcnt 0x0
	v_lshrrev_b32_e32 v8, v9, v8
	v_and_b32_e32 v8, 1, v8
	s_delay_alu instid0(VALU_DEP_1)
	v_cmpx_eq_u32_e32 1, v8
	s_cbranch_execz .LBB0_11
; %bb.8:
	v_dual_lshrrev_b32 v8, 11, v1 :: v_dual_lshrrev_b32 v9, 8, v1
	s_mov_b32 s8, exec_lo
	s_delay_alu instid0(VALU_DEP_1) | instskip(SKIP_3) | instid1(VALU_DEP_1)
	v_and_b32_e32 v8, 0xfffc, v8
	global_load_b32 v8, v8, s[2:3]
	s_wait_loadcnt 0x0
	v_lshrrev_b32_e32 v8, v9, v8
	v_and_b32_e32 v8, 1, v8
	s_delay_alu instid0(VALU_DEP_1)
	v_cmpx_eq_u32_e32 1, v8
	s_cbranch_execz .LBB0_10
; %bb.9:
	v_lshrrev_b32_e32 v8, 5, v1
	v_and_b32_e32 v1, 0xff, v1
	s_delay_alu instid0(VALU_DEP_2)
	v_and_b32_e32 v8, 0x7fffff8, v8
	global_load_b64 v[8:9], v8, s[6:7]
	s_wait_loadcnt 0x0
	v_alignbit_b32 v10, v9, v8, 24
	v_mov_b32_e32 v9, 0
	v_and_b32_e32 v8, 0xfffff, v8
	s_delay_alu instid0(VALU_DEP_3) | instskip(NEXT) | instid1(VALU_DEP_3)
	v_and_b32_e32 v10, 0xffff, v10
	v_mov_b32_e32 v11, v9
	s_delay_alu instid0(VALU_DEP_3) | instskip(NEXT) | instid1(VALU_DEP_3)
	v_mul_u32_u24_e32 v8, v8, v1
	v_mul_u32_u24_e32 v10, v10, v1
	s_delay_alu instid0(VALU_DEP_2) | instskip(NEXT) | instid1(VALU_DEP_2)
	v_add_nc_u64_e32 v[2:3], v[2:3], v[8:9]
	v_lshlrev_b64_e32 v[10:11], 24, v[10:11]
	s_delay_alu instid0(VALU_DEP_1)
	v_add_nc_u64_e32 v[2:3], v[2:3], v[10:11]
.LBB0_10:
	s_or_b32 exec_lo, exec_lo, s8
.LBB0_11:
	s_delay_alu instid0(SALU_CYCLE_1)
	s_or_b32 exec_lo, exec_lo, s5
.LBB0_12:
	s_delay_alu instid0(SALU_CYCLE_1)
	s_or_b32 exec_lo, exec_lo, s4
	global_load_b32 v1, v[6:7], off offset:8
	s_mov_b32 s4, exec_lo
	s_wait_loadcnt 0x0
	v_cmpx_ne_u32_e32 -1, v1
	s_cbranch_execz .LBB0_18
; %bb.13:
	v_dual_lshrrev_b32 v8, 16, v1 :: v_dual_lshrrev_b32 v9, 13, v1
	s_mov_b32 s5, exec_lo
	s_delay_alu instid0(VALU_DEP_1) | instskip(SKIP_4) | instid1(VALU_DEP_1)
	v_and_b32_e32 v8, 0xfffc, v8
	s_wait_kmcnt 0x0
	global_load_b32 v8, v8, s[2:3]
	s_wait_loadcnt 0x0
	v_lshrrev_b32_e32 v8, v9, v8
	v_and_b32_e32 v8, 1, v8
	s_delay_alu instid0(VALU_DEP_1)
	v_cmpx_eq_u32_e32 1, v8
	s_cbranch_execz .LBB0_17
; %bb.14:
	v_dual_lshrrev_b32 v8, 11, v1 :: v_dual_lshrrev_b32 v9, 8, v1
	s_mov_b32 s8, exec_lo
	s_delay_alu instid0(VALU_DEP_1) | instskip(SKIP_3) | instid1(VALU_DEP_1)
	v_and_b32_e32 v8, 0xfffc, v8
	global_load_b32 v8, v8, s[2:3]
	s_wait_loadcnt 0x0
	v_lshrrev_b32_e32 v8, v9, v8
	v_and_b32_e32 v8, 1, v8
	s_delay_alu instid0(VALU_DEP_1)
	v_cmpx_eq_u32_e32 1, v8
	s_cbranch_execz .LBB0_16
; %bb.15:
	v_lshrrev_b32_e32 v8, 5, v1
	v_and_b32_e32 v1, 0xff, v1
	s_delay_alu instid0(VALU_DEP_2)
	v_and_b32_e32 v8, 0x7fffff8, v8
	global_load_b64 v[8:9], v8, s[6:7]
	s_wait_loadcnt 0x0
	v_alignbit_b32 v10, v9, v8, 24
	v_mov_b32_e32 v9, 0
	v_and_b32_e32 v8, 0xfffff, v8
	s_delay_alu instid0(VALU_DEP_3) | instskip(NEXT) | instid1(VALU_DEP_3)
	v_and_b32_e32 v10, 0xffff, v10
	v_mov_b32_e32 v11, v9
	s_delay_alu instid0(VALU_DEP_3) | instskip(NEXT) | instid1(VALU_DEP_3)
	v_mul_u32_u24_e32 v8, v8, v1
	v_mul_u32_u24_e32 v10, v10, v1
	s_delay_alu instid0(VALU_DEP_2) | instskip(NEXT) | instid1(VALU_DEP_2)
	v_add_nc_u64_e32 v[2:3], v[2:3], v[8:9]
	v_lshlrev_b64_e32 v[10:11], 24, v[10:11]
	s_delay_alu instid0(VALU_DEP_1)
	v_add_nc_u64_e32 v[2:3], v[2:3], v[10:11]
.LBB0_16:
	s_or_b32 exec_lo, exec_lo, s8
.LBB0_17:
	s_delay_alu instid0(SALU_CYCLE_1)
	s_or_b32 exec_lo, exec_lo, s5
.LBB0_18:
	;; [unrolled: 59-line block ×6, first 2 shown]
	s_delay_alu instid0(SALU_CYCLE_1)
	s_or_b32 exec_lo, exec_lo, s4
	global_load_b32 v1, v[6:7], off offset:28
	s_clause 0x1
	s_load_b64 s[4:5], s[0:1], 0x18
	s_load_b64 s[8:9], s[0:1], 0x8
	s_mov_b32 s11, exec_lo
	s_wait_loadcnt 0x0
	v_cmpx_ne_u32_e32 -1, v1
	s_cbranch_execz .LBB0_48
; %bb.43:
	v_dual_lshrrev_b32 v6, 16, v1 :: v_dual_lshrrev_b32 v7, 13, v1
	s_mov_b32 s12, exec_lo
	s_delay_alu instid0(VALU_DEP_1) | instskip(SKIP_4) | instid1(VALU_DEP_1)
	v_and_b32_e32 v6, 0xfffc, v6
	s_wait_kmcnt 0x0
	global_load_b32 v6, v6, s[2:3]
	s_wait_loadcnt 0x0
	v_lshrrev_b32_e32 v6, v7, v6
	v_and_b32_e32 v6, 1, v6
	s_delay_alu instid0(VALU_DEP_1)
	v_cmpx_eq_u32_e32 1, v6
	s_cbranch_execz .LBB0_47
; %bb.44:
	v_dual_lshrrev_b32 v6, 11, v1 :: v_dual_lshrrev_b32 v7, 8, v1
	s_mov_b32 s13, exec_lo
	s_delay_alu instid0(VALU_DEP_1) | instskip(SKIP_3) | instid1(VALU_DEP_1)
	v_and_b32_e32 v6, 0xfffc, v6
	global_load_b32 v6, v6, s[2:3]
	s_wait_loadcnt 0x0
	v_lshrrev_b32_e32 v6, v7, v6
	v_and_b32_e32 v6, 1, v6
	s_delay_alu instid0(VALU_DEP_1)
	v_cmpx_eq_u32_e32 1, v6
	s_cbranch_execz .LBB0_46
; %bb.45:
	v_lshrrev_b32_e32 v6, 5, v1
	v_and_b32_e32 v1, 0xff, v1
	s_delay_alu instid0(VALU_DEP_2)
	v_and_b32_e32 v6, 0x7fffff8, v6
	global_load_b64 v[6:7], v6, s[6:7]
	s_wait_loadcnt 0x0
	v_alignbit_b32 v8, v7, v6, 24
	v_mov_b32_e32 v7, 0
	v_and_b32_e32 v6, 0xfffff, v6
	s_delay_alu instid0(VALU_DEP_3) | instskip(NEXT) | instid1(VALU_DEP_3)
	v_and_b32_e32 v8, 0xffff, v8
	v_mov_b32_e32 v9, v7
	s_delay_alu instid0(VALU_DEP_3) | instskip(NEXT) | instid1(VALU_DEP_3)
	v_mul_u32_u24_e32 v6, v6, v1
	v_mul_u32_u24_e32 v8, v8, v1
	s_delay_alu instid0(VALU_DEP_2) | instskip(NEXT) | instid1(VALU_DEP_2)
	v_add_nc_u64_e32 v[2:3], v[2:3], v[6:7]
	v_lshlrev_b64_e32 v[8:9], 24, v[8:9]
	s_delay_alu instid0(VALU_DEP_1)
	v_add_nc_u64_e32 v[2:3], v[2:3], v[8:9]
.LBB0_46:
	s_or_b32 exec_lo, exec_lo, s13
.LBB0_47:
	s_delay_alu instid0(SALU_CYCLE_1)
	s_or_b32 exec_lo, exec_lo, s12
.LBB0_48:
	s_delay_alu instid0(SALU_CYCLE_1)
	s_or_b32 exec_lo, exec_lo, s11
	s_wait_kmcnt 0x0
	v_lshl_add_u64 v[4:5], v[4:5], 2, s[8:9]
	s_mov_b32 s6, exec_lo
	global_load_b32 v1, v[4:5], off
	s_wait_loadcnt 0x0
	v_cmpx_ne_u32_e32 -1, v1
	s_cbranch_execz .LBB0_54
; %bb.49:
	v_dual_lshrrev_b32 v6, 16, v1 :: v_dual_lshrrev_b32 v7, 13, v1
	s_mov_b32 s7, exec_lo
	s_delay_alu instid0(VALU_DEP_1) | instskip(SKIP_3) | instid1(VALU_DEP_1)
	v_and_b32_e32 v6, 0xfffc, v6
	global_load_b32 v6, v6, s[2:3]
	s_wait_loadcnt 0x0
	v_lshrrev_b32_e32 v6, v7, v6
	v_and_b32_e32 v6, 1, v6
	s_delay_alu instid0(VALU_DEP_1)
	v_cmpx_eq_u32_e32 1, v6
	s_cbranch_execz .LBB0_53
; %bb.50:
	v_dual_lshrrev_b32 v6, 11, v1 :: v_dual_lshrrev_b32 v7, 8, v1
	s_mov_b32 s8, exec_lo
	s_delay_alu instid0(VALU_DEP_1) | instskip(SKIP_3) | instid1(VALU_DEP_1)
	v_and_b32_e32 v6, 0xfffc, v6
	global_load_b32 v6, v6, s[2:3]
	s_wait_loadcnt 0x0
	v_lshrrev_b32_e32 v6, v7, v6
	v_and_b32_e32 v6, 1, v6
	s_delay_alu instid0(VALU_DEP_1)
	v_cmpx_eq_u32_e32 1, v6
	s_cbranch_execz .LBB0_52
; %bb.51:
	v_lshrrev_b32_e32 v6, 5, v1
	v_and_b32_e32 v1, 0xff, v1
	s_delay_alu instid0(VALU_DEP_2)
	v_and_b32_e32 v6, 0x7fffff8, v6
	global_load_b64 v[6:7], v6, s[4:5]
	s_wait_loadcnt 0x0
	v_alignbit_b32 v8, v7, v6, 24
	v_mov_b32_e32 v7, 0
	v_and_b32_e32 v6, 0xfffff, v6
	s_delay_alu instid0(VALU_DEP_3) | instskip(NEXT) | instid1(VALU_DEP_3)
	v_and_b32_e32 v8, 0xffff, v8
	v_mov_b32_e32 v9, v7
	s_delay_alu instid0(VALU_DEP_3) | instskip(NEXT) | instid1(VALU_DEP_3)
	v_mul_u32_u24_e32 v6, v6, v1
	v_mul_u32_u24_e32 v8, v8, v1
	s_delay_alu instid0(VALU_DEP_2) | instskip(NEXT) | instid1(VALU_DEP_2)
	v_add_nc_u64_e32 v[2:3], v[2:3], v[6:7]
	v_lshlrev_b64_e32 v[8:9], 24, v[8:9]
	s_delay_alu instid0(VALU_DEP_1)
	v_add_nc_u64_e32 v[2:3], v[2:3], v[8:9]
.LBB0_52:
	s_or_b32 exec_lo, exec_lo, s8
.LBB0_53:
	s_delay_alu instid0(SALU_CYCLE_1)
	s_or_b32 exec_lo, exec_lo, s7
.LBB0_54:
	s_delay_alu instid0(SALU_CYCLE_1)
	s_or_b32 exec_lo, exec_lo, s6
	global_load_b32 v1, v[4:5], off offset:4
	s_mov_b32 s6, exec_lo
	s_wait_loadcnt 0x0
	v_cmpx_ne_u32_e32 -1, v1
	s_cbranch_execz .LBB0_60
; %bb.55:
	v_dual_lshrrev_b32 v6, 16, v1 :: v_dual_lshrrev_b32 v7, 13, v1
	s_mov_b32 s7, exec_lo
	s_delay_alu instid0(VALU_DEP_1) | instskip(SKIP_3) | instid1(VALU_DEP_1)
	v_and_b32_e32 v6, 0xfffc, v6
	global_load_b32 v6, v6, s[2:3]
	s_wait_loadcnt 0x0
	v_lshrrev_b32_e32 v6, v7, v6
	v_and_b32_e32 v6, 1, v6
	s_delay_alu instid0(VALU_DEP_1)
	v_cmpx_eq_u32_e32 1, v6
	s_cbranch_execz .LBB0_59
; %bb.56:
	v_dual_lshrrev_b32 v6, 11, v1 :: v_dual_lshrrev_b32 v7, 8, v1
	s_mov_b32 s8, exec_lo
	s_delay_alu instid0(VALU_DEP_1) | instskip(SKIP_3) | instid1(VALU_DEP_1)
	v_and_b32_e32 v6, 0xfffc, v6
	global_load_b32 v6, v6, s[2:3]
	s_wait_loadcnt 0x0
	v_lshrrev_b32_e32 v6, v7, v6
	v_and_b32_e32 v6, 1, v6
	s_delay_alu instid0(VALU_DEP_1)
	v_cmpx_eq_u32_e32 1, v6
	s_cbranch_execz .LBB0_58
; %bb.57:
	v_lshrrev_b32_e32 v6, 5, v1
	v_and_b32_e32 v1, 0xff, v1
	s_delay_alu instid0(VALU_DEP_2)
	v_and_b32_e32 v6, 0x7fffff8, v6
	global_load_b64 v[6:7], v6, s[4:5]
	s_wait_loadcnt 0x0
	v_alignbit_b32 v8, v7, v6, 24
	v_mov_b32_e32 v7, 0
	v_and_b32_e32 v6, 0xfffff, v6
	s_delay_alu instid0(VALU_DEP_3) | instskip(NEXT) | instid1(VALU_DEP_3)
	v_and_b32_e32 v8, 0xffff, v8
	v_mov_b32_e32 v9, v7
	s_delay_alu instid0(VALU_DEP_3) | instskip(NEXT) | instid1(VALU_DEP_3)
	v_mul_u32_u24_e32 v6, v6, v1
	v_mul_u32_u24_e32 v8, v8, v1
	s_delay_alu instid0(VALU_DEP_2) | instskip(NEXT) | instid1(VALU_DEP_2)
	v_add_nc_u64_e32 v[2:3], v[2:3], v[6:7]
	v_lshlrev_b64_e32 v[8:9], 24, v[8:9]
	s_delay_alu instid0(VALU_DEP_1)
	v_add_nc_u64_e32 v[2:3], v[2:3], v[8:9]
.LBB0_58:
	s_or_b32 exec_lo, exec_lo, s8
.LBB0_59:
	s_delay_alu instid0(SALU_CYCLE_1)
	s_or_b32 exec_lo, exec_lo, s7
.LBB0_60:
	s_delay_alu instid0(SALU_CYCLE_1)
	s_or_b32 exec_lo, exec_lo, s6
	global_load_b32 v1, v[4:5], off offset:8
	s_mov_b32 s6, exec_lo
	;; [unrolled: 58-line block ×7, first 2 shown]
	s_wait_loadcnt 0x0
	v_cmpx_ne_u32_e32 -1, v1
	s_cbranch_execz .LBB0_96
; %bb.91:
	v_dual_lshrrev_b32 v4, 16, v1 :: v_dual_lshrrev_b32 v5, 13, v1
	s_mov_b32 s7, exec_lo
	s_delay_alu instid0(VALU_DEP_1) | instskip(SKIP_3) | instid1(VALU_DEP_1)
	v_and_b32_e32 v4, 0xfffc, v4
	global_load_b32 v4, v4, s[2:3]
	s_wait_loadcnt 0x0
	v_lshrrev_b32_e32 v4, v5, v4
	v_and_b32_e32 v4, 1, v4
	s_delay_alu instid0(VALU_DEP_1)
	v_cmpx_eq_u32_e32 1, v4
	s_cbranch_execz .LBB0_95
; %bb.92:
	v_dual_lshrrev_b32 v4, 11, v1 :: v_dual_lshrrev_b32 v5, 8, v1
	s_delay_alu instid0(VALU_DEP_1)
	v_and_b32_e32 v4, 0xfffc, v4
	global_load_b32 v4, v4, s[2:3]
	s_wait_xcnt 0x0
	s_mov_b32 s2, exec_lo
	s_wait_loadcnt 0x0
	v_lshrrev_b32_e32 v4, v5, v4
	s_delay_alu instid0(VALU_DEP_1) | instskip(NEXT) | instid1(VALU_DEP_1)
	v_and_b32_e32 v4, 1, v4
	v_cmpx_eq_u32_e32 1, v4
	s_cbranch_execz .LBB0_94
; %bb.93:
	v_lshrrev_b32_e32 v4, 5, v1
	v_and_b32_e32 v1, 0xff, v1
	s_delay_alu instid0(VALU_DEP_2)
	v_and_b32_e32 v4, 0x7fffff8, v4
	global_load_b64 v[4:5], v4, s[4:5]
	s_wait_loadcnt 0x0
	v_alignbit_b32 v6, v5, v4, 24
	v_mov_b32_e32 v5, 0
	v_and_b32_e32 v4, 0xfffff, v4
	s_delay_alu instid0(VALU_DEP_3) | instskip(NEXT) | instid1(VALU_DEP_3)
	v_and_b32_e32 v6, 0xffff, v6
	v_mov_b32_e32 v7, v5
	s_delay_alu instid0(VALU_DEP_3) | instskip(NEXT) | instid1(VALU_DEP_3)
	v_mul_u32_u24_e32 v4, v4, v1
	v_mul_u32_u24_e32 v6, v6, v1
	s_delay_alu instid0(VALU_DEP_2) | instskip(NEXT) | instid1(VALU_DEP_2)
	v_add_nc_u64_e32 v[2:3], v[2:3], v[4:5]
	v_lshlrev_b64_e32 v[6:7], 24, v[6:7]
	s_delay_alu instid0(VALU_DEP_1)
	v_add_nc_u64_e32 v[2:3], v[2:3], v[6:7]
.LBB0_94:
	s_or_b32 exec_lo, exec_lo, s2
.LBB0_95:
	s_delay_alu instid0(SALU_CYCLE_1)
	s_or_b32 exec_lo, exec_lo, s7
.LBB0_96:
	s_delay_alu instid0(SALU_CYCLE_1)
	s_or_b32 exec_lo, exec_lo, s6
	v_lshlrev_b32_e32 v1, 3, v0
	s_mov_b32 s2, exec_lo
	ds_store_b64 v1, v[2:3]
	s_wait_dscnt 0x0
	s_barrier_signal -1
	s_barrier_wait -1
	v_cmpx_eq_u32_e32 0, v0
	s_cbranch_execz .LBB0_98
; %bb.97:
	v_mov_b32_e32 v10, 0
	s_load_b128 s[4:7], s[0:1], 0x28
	ds_load_b128 v[0:3], v10
	ds_load_b128 v[4:7], v10 offset:16
	s_wait_dscnt 0x1
	v_add_nc_u64_e32 v[8:9], v[2:3], v[0:1]
	ds_load_b128 v[0:3], v10 offset:32
	s_wait_dscnt 0x1
	v_add_nc_u64_e32 v[4:5], v[8:9], v[4:5]
	s_delay_alu instid0(VALU_DEP_1) | instskip(SKIP_3) | instid1(VALU_DEP_1)
	v_add_nc_u64_e32 v[8:9], v[4:5], v[6:7]
	ds_load_b128 v[4:7], v10 offset:48
	s_wait_dscnt 0x1
	v_add_nc_u64_e32 v[0:1], v[8:9], v[0:1]
	v_add_nc_u64_e32 v[0:1], v[0:1], v[2:3]
	v_mov_b32_e32 v2, s10
	s_wait_dscnt 0x0
	s_delay_alu instid0(VALU_DEP_2) | instskip(NEXT) | instid1(VALU_DEP_1)
	v_add_nc_u64_e32 v[0:1], v[0:1], v[4:5]
	v_add_nc_u64_e32 v[0:1], v[0:1], v[6:7]
	s_wait_kmcnt 0x0
	s_clause 0x1
	global_store_b32 v2, v1, s[4:5] scale_offset
	global_store_b32 v2, v0, s[6:7] scale_offset
.LBB0_98:
	s_endpgm
	.section	.rodata,"a",@progbits
	.p2align	6, 0x0
	.amdhsa_kernel _Z7computePKjS0_PKmS2_S0_PjS3_
		.amdhsa_group_segment_fixed_size 64
		.amdhsa_private_segment_fixed_size 0
		.amdhsa_kernarg_size 312
		.amdhsa_user_sgpr_count 2
		.amdhsa_user_sgpr_dispatch_ptr 0
		.amdhsa_user_sgpr_queue_ptr 0
		.amdhsa_user_sgpr_kernarg_segment_ptr 1
		.amdhsa_user_sgpr_dispatch_id 0
		.amdhsa_user_sgpr_kernarg_preload_length 0
		.amdhsa_user_sgpr_kernarg_preload_offset 0
		.amdhsa_user_sgpr_private_segment_size 0
		.amdhsa_wavefront_size32 1
		.amdhsa_uses_dynamic_stack 0
		.amdhsa_enable_private_segment 0
		.amdhsa_system_sgpr_workgroup_id_x 1
		.amdhsa_system_sgpr_workgroup_id_y 0
		.amdhsa_system_sgpr_workgroup_id_z 0
		.amdhsa_system_sgpr_workgroup_info 0
		.amdhsa_system_vgpr_workitem_id 0
		.amdhsa_next_free_vgpr 12
		.amdhsa_next_free_sgpr 14
		.amdhsa_named_barrier_count 0
		.amdhsa_reserve_vcc 0
		.amdhsa_float_round_mode_32 0
		.amdhsa_float_round_mode_16_64 0
		.amdhsa_float_denorm_mode_32 3
		.amdhsa_float_denorm_mode_16_64 3
		.amdhsa_fp16_overflow 0
		.amdhsa_memory_ordered 1
		.amdhsa_forward_progress 1
		.amdhsa_inst_pref_size 39
		.amdhsa_round_robin_scheduling 0
		.amdhsa_exception_fp_ieee_invalid_op 0
		.amdhsa_exception_fp_denorm_src 0
		.amdhsa_exception_fp_ieee_div_zero 0
		.amdhsa_exception_fp_ieee_overflow 0
		.amdhsa_exception_fp_ieee_underflow 0
		.amdhsa_exception_fp_ieee_inexact 0
		.amdhsa_exception_int_div_zero 0
	.end_amdhsa_kernel
	.text
.Lfunc_end0:
	.size	_Z7computePKjS0_PKmS2_S0_PjS3_, .Lfunc_end0-_Z7computePKjS0_PKmS2_S0_PjS3_
                                        ; -- End function
	.set _Z7computePKjS0_PKmS2_S0_PjS3_.num_vgpr, 12
	.set _Z7computePKjS0_PKmS2_S0_PjS3_.num_agpr, 0
	.set _Z7computePKjS0_PKmS2_S0_PjS3_.numbered_sgpr, 14
	.set _Z7computePKjS0_PKmS2_S0_PjS3_.num_named_barrier, 0
	.set _Z7computePKjS0_PKmS2_S0_PjS3_.private_seg_size, 0
	.set _Z7computePKjS0_PKmS2_S0_PjS3_.uses_vcc, 0
	.set _Z7computePKjS0_PKmS2_S0_PjS3_.uses_flat_scratch, 0
	.set _Z7computePKjS0_PKmS2_S0_PjS3_.has_dyn_sized_stack, 0
	.set _Z7computePKjS0_PKmS2_S0_PjS3_.has_recursion, 0
	.set _Z7computePKjS0_PKmS2_S0_PjS3_.has_indirect_call, 0
	.section	.AMDGPU.csdata,"",@progbits
; Kernel info:
; codeLenInByte = 4908
; TotalNumSgprs: 14
; NumVgprs: 12
; ScratchSize: 0
; MemoryBound: 0
; FloatMode: 240
; IeeeMode: 1
; LDSByteSize: 64 bytes/workgroup (compile time only)
; SGPRBlocks: 0
; VGPRBlocks: 0
; NumSGPRsForWavesPerEU: 14
; NumVGPRsForWavesPerEU: 12
; NamedBarCnt: 0
; Occupancy: 16
; WaveLimiterHint : 1
; COMPUTE_PGM_RSRC2:SCRATCH_EN: 0
; COMPUTE_PGM_RSRC2:USER_SGPR: 2
; COMPUTE_PGM_RSRC2:TRAP_HANDLER: 0
; COMPUTE_PGM_RSRC2:TGID_X_EN: 1
; COMPUTE_PGM_RSRC2:TGID_Y_EN: 0
; COMPUTE_PGM_RSRC2:TGID_Z_EN: 0
; COMPUTE_PGM_RSRC2:TIDIG_COMP_CNT: 0
	.text
	.protected	_Z9reductionPKmPKjS2_Pm ; -- Begin function _Z9reductionPKmPKjS2_Pm
	.globl	_Z9reductionPKmPKjS2_Pm
	.p2align	8
	.type	_Z9reductionPKmPKjS2_Pm,@function
_Z9reductionPKmPKjS2_Pm:                ; @_Z9reductionPKmPKjS2_Pm
; %bb.0:
	s_clause 0x1
	s_load_b32 s4, s[0:1], 0x2c
	s_load_b64 s[2:3], s[0:1], 0x0
	s_bfe_u32 s5, ttmp6, 0x4000c
	s_and_b32 s6, ttmp6, 15
	s_add_co_i32 s5, s5, 1
	s_getreg_b32 s7, hwreg(HW_REG_IB_STS2, 6, 4)
	s_mul_i32 s5, ttmp9, s5
	v_mov_b64_e32 v[2:3], 0
	s_add_co_i32 s6, s6, s5
	s_wait_kmcnt 0x0
	s_and_b32 s4, s4, 0xffff
	s_cmp_eq_u32 s7, 0
	s_cselect_b32 s5, ttmp9, s6
	s_delay_alu instid0(SALU_CYCLE_1)
	v_mad_u32 v0, s5, s4, v0
	global_load_b64 v[4:5], v0, s[2:3] scale_offset
	v_ashrrev_i32_e32 v1, 31, v0
	s_wait_xcnt 0x0
	s_mov_b32 s2, exec_lo
	s_wait_loadcnt 0x0
	v_cmpx_le_u32_e64 v5, v4
	s_cbranch_execz .LBB1_8
; %bb.1:
	s_load_b128 s[4:7], s[0:1], 0x8
	v_dual_add_nc_u32 v6, 1, v4 :: v_dual_add_nc_u32 v7, 1, v5
	v_mov_b64_e32 v[2:3], 0
	s_mov_b32 s3, exec_lo
	s_delay_alu instid0(VALU_DEP_2) | instskip(NEXT) | instid1(VALU_DEP_1)
	v_max_u32_e32 v4, v6, v7
	v_sub_nc_u32_e32 v4, v4, v5
	v_cmpx_lt_u32_e64 v7, v6
	s_cbranch_execz .LBB1_5
; %bb.2:
	s_delay_alu instid0(VALU_DEP_2) | instskip(SKIP_2) | instid1(VALU_DEP_2)
	v_and_b32_e32 v6, -2, v4
	v_mov_b64_e32 v[2:3], 0
	s_mov_b32 s8, 0
	v_add_nc_u32_e32 v7, v6, v5
.LBB1_3:                                ; =>This Inner Loop Header: Depth=1
	s_wait_kmcnt 0x0
	s_clause 0x1
	global_load_b32 v9, v5, s[4:5] scale_offset
	global_load_b32 v8, v5, s[6:7] scale_offset
	v_dual_add_nc_u32 v12, 1, v5 :: v_dual_add_nc_u32 v6, -2, v6
	s_wait_xcnt 0x0
	v_add_nc_u32_e32 v5, 2, v5
	s_clause 0x1
	global_load_b32 v11, v12, s[4:5] scale_offset
	global_load_b32 v10, v12, s[6:7] scale_offset
	v_cmp_eq_u32_e32 vcc_lo, 0, v6
	s_or_b32 s8, vcc_lo, s8
	s_wait_loadcnt 0x2
	v_add_nc_u64_e32 v[2:3], v[8:9], v[2:3]
	s_wait_loadcnt 0x0
	s_delay_alu instid0(VALU_DEP_1)
	v_add_nc_u64_e32 v[2:3], v[10:11], v[2:3]
	s_and_not1_b32 exec_lo, exec_lo, s8
	s_cbranch_execnz .LBB1_3
; %bb.4:
	s_or_b32 exec_lo, exec_lo, s8
	v_mov_b32_e32 v5, v7
.LBB1_5:
	s_or_b32 exec_lo, exec_lo, s3
	s_delay_alu instid0(VALU_DEP_2) | instskip(SKIP_1) | instid1(VALU_DEP_1)
	v_and_b32_e32 v4, 1, v4
	s_mov_b32 s3, exec_lo
	v_cmpx_eq_u32_e32 1, v4
	s_cbranch_execz .LBB1_7
; %bb.6:
	s_wait_kmcnt 0x0
	s_clause 0x1
	global_load_b32 v7, v5, s[4:5] scale_offset
	global_load_b32 v6, v5, s[6:7] scale_offset
	s_wait_loadcnt 0x0
	v_add_nc_u64_e32 v[2:3], v[6:7], v[2:3]
.LBB1_7:
	s_or_b32 exec_lo, exec_lo, s3
.LBB1_8:
	s_delay_alu instid0(SALU_CYCLE_1)
	s_or_b32 exec_lo, exec_lo, s2
	s_wait_xcnt 0x0
	s_load_b64 s[0:1], s[0:1], 0x18
	s_wait_kmcnt 0x0
	v_lshl_add_u64 v[0:1], v[0:1], 3, s[0:1]
	global_store_b64 v[0:1], v[2:3], off
	s_endpgm
	.section	.rodata,"a",@progbits
	.p2align	6, 0x0
	.amdhsa_kernel _Z9reductionPKmPKjS2_Pm
		.amdhsa_group_segment_fixed_size 0
		.amdhsa_private_segment_fixed_size 0
		.amdhsa_kernarg_size 288
		.amdhsa_user_sgpr_count 2
		.amdhsa_user_sgpr_dispatch_ptr 0
		.amdhsa_user_sgpr_queue_ptr 0
		.amdhsa_user_sgpr_kernarg_segment_ptr 1
		.amdhsa_user_sgpr_dispatch_id 0
		.amdhsa_user_sgpr_kernarg_preload_length 0
		.amdhsa_user_sgpr_kernarg_preload_offset 0
		.amdhsa_user_sgpr_private_segment_size 0
		.amdhsa_wavefront_size32 1
		.amdhsa_uses_dynamic_stack 0
		.amdhsa_enable_private_segment 0
		.amdhsa_system_sgpr_workgroup_id_x 1
		.amdhsa_system_sgpr_workgroup_id_y 0
		.amdhsa_system_sgpr_workgroup_id_z 0
		.amdhsa_system_sgpr_workgroup_info 0
		.amdhsa_system_vgpr_workitem_id 0
		.amdhsa_next_free_vgpr 13
		.amdhsa_next_free_sgpr 9
		.amdhsa_named_barrier_count 0
		.amdhsa_reserve_vcc 1
		.amdhsa_float_round_mode_32 0
		.amdhsa_float_round_mode_16_64 0
		.amdhsa_float_denorm_mode_32 3
		.amdhsa_float_denorm_mode_16_64 3
		.amdhsa_fp16_overflow 0
		.amdhsa_memory_ordered 1
		.amdhsa_forward_progress 1
		.amdhsa_inst_pref_size 4
		.amdhsa_round_robin_scheduling 0
		.amdhsa_exception_fp_ieee_invalid_op 0
		.amdhsa_exception_fp_denorm_src 0
		.amdhsa_exception_fp_ieee_div_zero 0
		.amdhsa_exception_fp_ieee_overflow 0
		.amdhsa_exception_fp_ieee_underflow 0
		.amdhsa_exception_fp_ieee_inexact 0
		.amdhsa_exception_int_div_zero 0
	.end_amdhsa_kernel
	.text
.Lfunc_end1:
	.size	_Z9reductionPKmPKjS2_Pm, .Lfunc_end1-_Z9reductionPKmPKjS2_Pm
                                        ; -- End function
	.set _Z9reductionPKmPKjS2_Pm.num_vgpr, 13
	.set _Z9reductionPKmPKjS2_Pm.num_agpr, 0
	.set _Z9reductionPKmPKjS2_Pm.numbered_sgpr, 9
	.set _Z9reductionPKmPKjS2_Pm.num_named_barrier, 0
	.set _Z9reductionPKmPKjS2_Pm.private_seg_size, 0
	.set _Z9reductionPKmPKjS2_Pm.uses_vcc, 1
	.set _Z9reductionPKmPKjS2_Pm.uses_flat_scratch, 0
	.set _Z9reductionPKmPKjS2_Pm.has_dyn_sized_stack, 0
	.set _Z9reductionPKmPKjS2_Pm.has_recursion, 0
	.set _Z9reductionPKmPKjS2_Pm.has_indirect_call, 0
	.section	.AMDGPU.csdata,"",@progbits
; Kernel info:
; codeLenInByte = 436
; TotalNumSgprs: 11
; NumVgprs: 13
; ScratchSize: 0
; MemoryBound: 0
; FloatMode: 240
; IeeeMode: 1
; LDSByteSize: 0 bytes/workgroup (compile time only)
; SGPRBlocks: 0
; VGPRBlocks: 0
; NumSGPRsForWavesPerEU: 11
; NumVGPRsForWavesPerEU: 13
; NamedBarCnt: 0
; Occupancy: 16
; WaveLimiterHint : 0
; COMPUTE_PGM_RSRC2:SCRATCH_EN: 0
; COMPUTE_PGM_RSRC2:USER_SGPR: 2
; COMPUTE_PGM_RSRC2:TRAP_HANDLER: 0
; COMPUTE_PGM_RSRC2:TGID_X_EN: 1
; COMPUTE_PGM_RSRC2:TGID_Y_EN: 0
; COMPUTE_PGM_RSRC2:TGID_Z_EN: 0
; COMPUTE_PGM_RSRC2:TIDIG_COMP_CNT: 0
	.text
	.p2alignl 7, 3214868480
	.fill 96, 4, 3214868480
	.section	.AMDGPU.gpr_maximums,"",@progbits
	.set amdgpu.max_num_vgpr, 0
	.set amdgpu.max_num_agpr, 0
	.set amdgpu.max_num_sgpr, 0
	.text
	.type	__hip_cuid_6b0efd5b551c9244,@object ; @__hip_cuid_6b0efd5b551c9244
	.section	.bss,"aw",@nobits
	.globl	__hip_cuid_6b0efd5b551c9244
__hip_cuid_6b0efd5b551c9244:
	.byte	0                               ; 0x0
	.size	__hip_cuid_6b0efd5b551c9244, 1

	.ident	"AMD clang version 22.0.0git (https://github.com/RadeonOpenCompute/llvm-project roc-7.2.4 26084 f58b06dce1f9c15707c5f808fd002e18c2accf7e)"
	.section	".note.GNU-stack","",@progbits
	.addrsig
	.addrsig_sym __hip_cuid_6b0efd5b551c9244
	.amdgpu_metadata
---
amdhsa.kernels:
  - .args:
      - .actual_access:  read_only
        .address_space:  global
        .offset:         0
        .size:           8
        .value_kind:     global_buffer
      - .actual_access:  read_only
        .address_space:  global
        .offset:         8
        .size:           8
        .value_kind:     global_buffer
      - .actual_access:  read_only
        .address_space:  global
        .offset:         16
        .size:           8
        .value_kind:     global_buffer
      - .actual_access:  read_only
        .address_space:  global
        .offset:         24
        .size:           8
        .value_kind:     global_buffer
      - .actual_access:  read_only
        .address_space:  global
        .offset:         32
        .size:           8
        .value_kind:     global_buffer
      - .actual_access:  write_only
        .address_space:  global
        .offset:         40
        .size:           8
        .value_kind:     global_buffer
      - .actual_access:  write_only
        .address_space:  global
        .offset:         48
        .size:           8
        .value_kind:     global_buffer
      - .offset:         56
        .size:           4
        .value_kind:     hidden_block_count_x
      - .offset:         60
        .size:           4
        .value_kind:     hidden_block_count_y
      - .offset:         64
        .size:           4
        .value_kind:     hidden_block_count_z
      - .offset:         68
        .size:           2
        .value_kind:     hidden_group_size_x
      - .offset:         70
        .size:           2
        .value_kind:     hidden_group_size_y
      - .offset:         72
        .size:           2
        .value_kind:     hidden_group_size_z
      - .offset:         74
        .size:           2
        .value_kind:     hidden_remainder_x
      - .offset:         76
        .size:           2
        .value_kind:     hidden_remainder_y
      - .offset:         78
        .size:           2
        .value_kind:     hidden_remainder_z
      - .offset:         96
        .size:           8
        .value_kind:     hidden_global_offset_x
      - .offset:         104
        .size:           8
        .value_kind:     hidden_global_offset_y
      - .offset:         112
        .size:           8
        .value_kind:     hidden_global_offset_z
      - .offset:         120
        .size:           2
        .value_kind:     hidden_grid_dims
    .group_segment_fixed_size: 64
    .kernarg_segment_align: 8
    .kernarg_segment_size: 312
    .language:       OpenCL C
    .language_version:
      - 2
      - 0
    .max_flat_workgroup_size: 1024
    .name:           _Z7computePKjS0_PKmS2_S0_PjS3_
    .private_segment_fixed_size: 0
    .sgpr_count:     14
    .sgpr_spill_count: 0
    .symbol:         _Z7computePKjS0_PKmS2_S0_PjS3_.kd
    .uniform_work_group_size: 1
    .uses_dynamic_stack: false
    .vgpr_count:     12
    .vgpr_spill_count: 0
    .wavefront_size: 32
  - .args:
      - .actual_access:  read_only
        .address_space:  global
        .offset:         0
        .size:           8
        .value_kind:     global_buffer
      - .actual_access:  read_only
        .address_space:  global
        .offset:         8
        .size:           8
        .value_kind:     global_buffer
      - .actual_access:  read_only
        .address_space:  global
        .offset:         16
        .size:           8
        .value_kind:     global_buffer
      - .actual_access:  write_only
        .address_space:  global
        .offset:         24
        .size:           8
        .value_kind:     global_buffer
      - .offset:         32
        .size:           4
        .value_kind:     hidden_block_count_x
      - .offset:         36
        .size:           4
        .value_kind:     hidden_block_count_y
      - .offset:         40
        .size:           4
        .value_kind:     hidden_block_count_z
      - .offset:         44
        .size:           2
        .value_kind:     hidden_group_size_x
      - .offset:         46
        .size:           2
        .value_kind:     hidden_group_size_y
      - .offset:         48
        .size:           2
        .value_kind:     hidden_group_size_z
      - .offset:         50
        .size:           2
        .value_kind:     hidden_remainder_x
      - .offset:         52
        .size:           2
        .value_kind:     hidden_remainder_y
      - .offset:         54
        .size:           2
        .value_kind:     hidden_remainder_z
      - .offset:         72
        .size:           8
        .value_kind:     hidden_global_offset_x
      - .offset:         80
        .size:           8
        .value_kind:     hidden_global_offset_y
      - .offset:         88
        .size:           8
        .value_kind:     hidden_global_offset_z
      - .offset:         96
        .size:           2
        .value_kind:     hidden_grid_dims
    .group_segment_fixed_size: 0
    .kernarg_segment_align: 8
    .kernarg_segment_size: 288
    .language:       OpenCL C
    .language_version:
      - 2
      - 0
    .max_flat_workgroup_size: 1024
    .name:           _Z9reductionPKmPKjS2_Pm
    .private_segment_fixed_size: 0
    .sgpr_count:     11
    .sgpr_spill_count: 0
    .symbol:         _Z9reductionPKmPKjS2_Pm.kd
    .uniform_work_group_size: 1
    .uses_dynamic_stack: false
    .vgpr_count:     13
    .vgpr_spill_count: 0
    .wavefront_size: 32
amdhsa.target:   amdgcn-amd-amdhsa--gfx1250
amdhsa.version:
  - 1
  - 2
...

	.end_amdgpu_metadata
